;; amdgpu-corpus repo=ROCm/rocFFT kind=compiled arch=gfx906 opt=O3
	.text
	.amdgcn_target "amdgcn-amd-amdhsa--gfx906"
	.amdhsa_code_object_version 6
	.protected	fft_rtc_fwd_len17_factors_17_wgs_120_tpt_1_dp_op_CI_CI_sbrc_erc_z_xy_aligned_dirReg ; -- Begin function fft_rtc_fwd_len17_factors_17_wgs_120_tpt_1_dp_op_CI_CI_sbrc_erc_z_xy_aligned_dirReg
	.globl	fft_rtc_fwd_len17_factors_17_wgs_120_tpt_1_dp_op_CI_CI_sbrc_erc_z_xy_aligned_dirReg
	.p2align	8
	.type	fft_rtc_fwd_len17_factors_17_wgs_120_tpt_1_dp_op_CI_CI_sbrc_erc_z_xy_aligned_dirReg,@function
fft_rtc_fwd_len17_factors_17_wgs_120_tpt_1_dp_op_CI_CI_sbrc_erc_z_xy_aligned_dirReg: ; @fft_rtc_fwd_len17_factors_17_wgs_120_tpt_1_dp_op_CI_CI_sbrc_erc_z_xy_aligned_dirReg
; %bb.0:
	s_load_dwordx8 s[8:15], s[4:5], 0x8
	v_add_u16_e32 v6, 0x78, v0
	v_mul_u32_u24_e32 v7, 0xf10, v6
	v_lshrrev_b32_e32 v78, 16, v7
	v_mul_lo_u16_e32 v7, 17, v78
	s_waitcnt lgkmcnt(0)
	s_load_dwordx4 s[0:3], s[10:11], 0x8
	s_load_dwordx4 s[16:19], s[12:13], 0x0
	s_waitcnt lgkmcnt(0)
	s_load_dword s19, s[12:13], 0x10
	v_sub_u16_e32 v79, v6, v7
	v_mov_b32_e32 v37, 0
	s_add_i32 s0, s0, -1
	s_mul_hi_u32 s0, s0, 0x88888889
	s_lshr_b32 s7, s0, 6
	s_add_i32 s10, s7, 1
	s_mul_i32 s11, s10, s2
	v_cvt_f32_u32_e32 v2, s11
	v_cvt_f32_u32_e32 v1, s10
	s_load_dwordx4 s[0:3], s[14:15], 0x0
	s_waitcnt lgkmcnt(0)
	s_sub_i32 s3, 0, s11
	v_rcp_iflag_f32_e32 v2, v2
	v_rcp_iflag_f32_e32 v1, v1
	s_mov_b32 s30, 0x5d8e7cdc
	s_mov_b32 s40, 0x2a9d6da3
	v_mul_f32_e32 v2, 0x4f7ffffe, v2
	v_cvt_u32_f32_e32 v2, v2
	v_mul_f32_e32 v1, 0x4f7ffffe, v1
	v_cvt_u32_f32_e32 v1, v1
	s_mov_b32 s48, 0x7c9e640b
	v_readfirstlane_b32 s21, v2
	s_mul_i32 s3, s3, s21
	s_mul_hi_u32 s3, s21, s3
	s_add_i32 s21, s21, s3
	s_mul_hi_u32 s3, s6, s21
	s_mul_i32 s21, s3, s11
	s_sub_i32 s21, s6, s21
	s_add_i32 s22, s3, 1
	s_sub_i32 s23, s21, s11
	s_cmp_ge_u32 s21, s11
	s_cselect_b32 s3, s22, s3
	s_cselect_b32 s21, s23, s21
	s_add_i32 s22, s3, 1
	s_cmp_ge_u32 s21, s11
	v_readfirstlane_b32 s20, v1
	s_cselect_b32 s33, s22, s3
	s_not_b32 s3, s7
	s_mul_i32 s3, s3, s20
	s_mul_i32 s7, s33, s11
	s_mul_hi_u32 s3, s20, s3
	s_sub_i32 s7, s6, s7
	s_add_i32 s20, s20, s3
	s_mul_hi_u32 s3, s7, s20
	s_mul_i32 s11, s3, s10
	s_sub_i32 s7, s7, s11
	s_add_i32 s21, s3, 1
	s_sub_i32 s11, s7, s10
	s_cmp_ge_u32 s7, s10
	s_cselect_b32 s3, s21, s3
	s_cselect_b32 s7, s11, s7
	s_add_i32 s11, s3, 1
	s_cmp_ge_u32 s7, s10
	s_cselect_b32 s56, s11, s3
	s_mul_hi_u32 s3, s6, s20
	s_mul_i32 s3, s3, s10
	s_sub_i32 s3, s6, s3
	s_sub_i32 s6, s3, s10
	s_cmp_ge_u32 s3, s10
	s_cselect_b32 s3, s6, s3
	s_sub_i32 s6, s3, s10
	s_cmp_ge_u32 s3, s10
	s_cselect_b32 s57, s6, s3
	s_mulk_i32 s57, 0x78
	s_mul_i32 s3, s56, s19
	s_mul_i32 s6, s57, s18
	s_add_i32 s6, s6, s3
	s_mul_i32 s3, s1, s57
	s_mul_hi_u32 s7, s0, s57
	s_add_i32 s3, s7, s3
	s_lshl_b64 s[20:21], s[8:9], 3
	s_add_u32 s12, s12, s20
	s_addc_u32 s13, s13, s21
	s_load_dwordx2 s[22:23], s[12:13], 0x0
	s_load_dwordx4 s[8:11], s[4:5], 0x58
	v_mul_u32_u24_e32 v1, 0xf10, v0
	v_lshrrev_b32_e32 v4, 16, v1
	v_mul_lo_u16_e32 v1, 17, v4
	s_waitcnt lgkmcnt(0)
	s_mul_i32 s4, s23, s33
	s_mul_hi_u32 s5, s22, s33
	s_add_i32 s13, s5, s4
	s_add_u32 s4, s14, s20
	s_addc_u32 s5, s15, s21
	s_load_dwordx2 s[4:5], s[4:5], 0x0
	v_sub_u16_e32 v5, v0, v1
	s_load_dword s58, s[14:15], 0x10
	v_mad_u64_u32 v[1:2], s[24:25], s16, v5, 0
	s_mul_i32 s12, s22, s33
	s_waitcnt lgkmcnt(0)
	s_mul_i32 s5, s5, s33
	s_mul_hi_u32 s14, s4, s33
	s_add_i32 s5, s14, s5
	s_lshl_b64 s[12:13], s[12:13], 4
	s_mov_b32 s7, 0
	v_mad_u64_u32 v[2:3], s[20:21], s17, v5, v[2:3]
	s_add_u32 s12, s8, s12
	s_addc_u32 s13, s9, s13
	s_lshl_b64 s[8:9], s[6:7], 4
	s_add_u32 s6, s12, s8
	s_addc_u32 s8, s13, s9
	v_mad_u64_u32 v[6:7], s[12:13], s16, v79, 0
	v_mul_lo_u32 v36, s18, v4
	v_lshlrev_b64 v[1:2], 4, v[1:2]
	v_mov_b32_e32 v3, s8
	v_add_co_u32_e32 v9, vcc, s6, v1
	v_addc_co_u32_e32 v10, vcc, v3, v2, vcc
	v_mov_b32_e32 v3, v7
	v_lshlrev_b64 v[1:2], 4, v[36:37]
	v_mad_u64_u32 v[7:8], s[12:13], s17, v79, v[3:4]
	v_add_u16_e32 v8, 0xf0, v0
	v_add_co_u32_e32 v1, vcc, v9, v1
	v_mul_u32_u24_e32 v9, 0xf10, v8
	v_lshrrev_b32_e32 v80, 16, v9
	v_mul_lo_u16_e32 v9, 17, v80
	v_sub_u16_e32 v81, v8, v9
	v_mad_u64_u32 v[14:15], s[12:13], s16, v81, 0
	v_lshlrev_b64 v[6:7], 4, v[6:7]
	v_addc_co_u32_e32 v2, vcc, v10, v2, vcc
	v_mul_lo_u32 v36, s18, v78
	v_mov_b32_e32 v3, s8
	v_add_co_u32_e32 v8, vcc, s6, v6
	v_addc_co_u32_e32 v9, vcc, v3, v7, vcc
	v_mov_b32_e32 v3, v15
	v_mad_u64_u32 v[15:16], s[12:13], s17, v81, v[3:4]
	v_lshlrev_b64 v[6:7], 4, v[36:37]
	v_mul_lo_u32 v36, s18, v80
	v_add_co_u32_e32 v16, vcc, v8, v6
	v_addc_co_u32_e32 v17, vcc, v9, v7, vcc
	global_load_dwordx4 v[6:9], v[1:2], off
	global_load_dwordx4 v[10:13], v[16:17], off
	v_lshlrev_b64 v[1:2], 4, v[14:15]
	v_add_u16_e32 v14, 0x168, v0
	v_mul_u32_u24_e32 v15, 0xf10, v14
	v_lshrrev_b32_e32 v82, 16, v15
	v_mul_lo_u16_e32 v15, 17, v82
	v_sub_u16_e32 v83, v14, v15
	v_mad_u64_u32 v[14:15], s[12:13], s16, v83, 0
	v_mov_b32_e32 v3, s8
	v_add_co_u32_e32 v17, vcc, s6, v1
	v_addc_co_u32_e32 v18, vcc, v3, v2, vcc
	v_mov_b32_e32 v3, v15
	v_lshlrev_b64 v[1:2], 4, v[36:37]
	v_mad_u64_u32 v[15:16], s[12:13], s17, v83, v[3:4]
	v_add_u16_e32 v16, 0x1e0, v0
	v_add_co_u32_e32 v1, vcc, v17, v1
	v_mul_u32_u24_e32 v17, 0xf10, v16
	v_lshrrev_b32_e32 v84, 16, v17
	v_mul_lo_u16_e32 v17, 17, v84
	v_sub_u16_e32 v85, v16, v17
	v_mad_u64_u32 v[22:23], s[12:13], s16, v85, 0
	v_lshlrev_b64 v[14:15], 4, v[14:15]
	v_addc_co_u32_e32 v2, vcc, v18, v2, vcc
	v_mul_lo_u32 v36, s18, v82
	v_mov_b32_e32 v3, s8
	v_add_co_u32_e32 v16, vcc, s6, v14
	v_addc_co_u32_e32 v17, vcc, v3, v15, vcc
	v_mov_b32_e32 v3, v23
	v_mad_u64_u32 v[23:24], s[12:13], s17, v85, v[3:4]
	v_lshlrev_b64 v[14:15], 4, v[36:37]
	v_mul_lo_u32 v36, s18, v84
	v_add_co_u32_e32 v24, vcc, v16, v14
	v_addc_co_u32_e32 v25, vcc, v17, v15, vcc
	global_load_dwordx4 v[14:17], v[1:2], off
	global_load_dwordx4 v[18:21], v[24:25], off
	v_lshlrev_b64 v[1:2], 4, v[22:23]
	v_add_u16_e32 v22, 0x258, v0
	v_mul_u32_u24_e32 v23, 0xf10, v22
	v_lshrrev_b32_e32 v86, 16, v23
	v_mul_lo_u16_e32 v23, 17, v86
	v_sub_u16_e32 v87, v22, v23
	v_mad_u64_u32 v[22:23], s[12:13], s16, v87, 0
	;; [unrolled: 34-line block ×3, first 2 shown]
	v_mov_b32_e32 v3, s8
	v_add_co_u32_e32 v33, vcc, s6, v1
	v_addc_co_u32_e32 v34, vcc, v3, v2, vcc
	v_mov_b32_e32 v3, v31
	v_lshlrev_b64 v[1:2], 4, v[36:37]
	v_mad_u64_u32 v[31:32], s[12:13], s17, v91, v[3:4]
	v_add_u16_e32 v32, 0x3c0, v0
	v_add_co_u32_e32 v1, vcc, v33, v1
	v_mul_u32_u24_e32 v33, 0xf10, v32
	v_lshrrev_b32_e32 v92, 16, v33
	v_mul_lo_u16_e32 v33, 17, v92
	v_sub_u16_e32 v93, v32, v33
	v_addc_co_u32_e32 v2, vcc, v34, v2, vcc
	v_mad_u64_u32 v[34:35], s[12:13], s16, v93, 0
	v_mul_lo_u32 v36, s18, v90
	v_lshlrev_b64 v[30:31], 4, v[30:31]
	v_mov_b32_e32 v3, s8
	v_add_co_u32_e32 v32, vcc, s6, v30
	v_addc_co_u32_e32 v33, vcc, v3, v31, vcc
	v_mov_b32_e32 v3, v35
	v_lshlrev_b64 v[30:31], 4, v[36:37]
	v_mad_u64_u32 v[35:36], s[12:13], s17, v93, v[3:4]
	v_add_co_u32_e32 v42, vcc, v32, v30
	v_addc_co_u32_e32 v43, vcc, v33, v31, vcc
	global_load_dwordx4 v[30:33], v[1:2], off
	global_load_dwordx4 v[38:41], v[42:43], off
	v_lshlrev_b64 v[1:2], 4, v[34:35]
	v_add_u16_e32 v34, 0x438, v0
	v_mul_u32_u24_e32 v35, 0xf10, v34
	v_lshrrev_b32_e32 v94, 16, v35
	v_mul_lo_u16_e32 v35, 17, v94
	v_sub_u16_e32 v95, v34, v35
	v_mul_lo_u32 v36, s18, v92
	v_mad_u64_u32 v[34:35], s[12:13], s16, v95, 0
	v_mov_b32_e32 v3, s8
	v_add_co_u32_e32 v42, vcc, s6, v1
	v_addc_co_u32_e32 v43, vcc, v3, v2, vcc
	v_lshlrev_b64 v[1:2], 4, v[36:37]
	v_mov_b32_e32 v3, v35
	v_mad_u64_u32 v[35:36], s[12:13], s17, v95, v[3:4]
	v_add_co_u32_e32 v1, vcc, v42, v1
	v_add_u16_e32 v42, 0x4b0, v0
	v_addc_co_u32_e32 v2, vcc, v43, v2, vcc
	v_mul_u32_u24_e32 v43, 0xf10, v42
	v_mul_lo_u32 v36, s18, v94
	v_lshrrev_b32_e32 v96, 16, v43
	v_lshlrev_b64 v[34:35], 4, v[34:35]
	v_mul_lo_u16_e32 v43, 17, v96
	v_sub_u16_e32 v97, v42, v43
	v_mov_b32_e32 v3, s8
	v_mad_u64_u32 v[50:51], s[12:13], s16, v97, 0
	v_add_co_u32_e32 v42, vcc, s6, v34
	v_addc_co_u32_e32 v43, vcc, v3, v35, vcc
	v_lshlrev_b64 v[34:35], 4, v[36:37]
	v_mov_b32_e32 v3, v51
	v_add_co_u32_e32 v34, vcc, v42, v34
	v_addc_co_u32_e32 v35, vcc, v43, v35, vcc
	global_load_dwordx4 v[42:45], v[1:2], off
	global_load_dwordx4 v[46:49], v[34:35], off
	v_add_u16_e32 v34, 0x528, v0
	v_mad_u64_u32 v[51:52], s[12:13], s17, v97, v[3:4]
	v_mul_u32_u24_e32 v35, 0xf10, v34
	v_lshrrev_b32_e32 v98, 16, v35
	v_mul_lo_u16_e32 v35, 17, v98
	v_mul_lo_u32 v36, s18, v96
	v_sub_u16_e32 v99, v34, v35
	v_lshlrev_b64 v[1:2], 4, v[50:51]
	v_mad_u64_u32 v[34:35], s[12:13], s16, v99, 0
	v_mov_b32_e32 v3, s8
	v_add_co_u32_e32 v50, vcc, s6, v1
	v_addc_co_u32_e32 v51, vcc, v3, v2, vcc
	v_lshlrev_b64 v[1:2], 4, v[36:37]
	v_mov_b32_e32 v3, v35
	v_mad_u64_u32 v[35:36], s[12:13], s17, v99, v[3:4]
	v_add_co_u32_e32 v1, vcc, v50, v1
	v_add_u16_e32 v50, 0x5a0, v0
	v_addc_co_u32_e32 v2, vcc, v51, v2, vcc
	v_mul_u32_u24_e32 v51, 0xf10, v50
	v_lshrrev_b32_e32 v100, 16, v51
	v_mul_lo_u32 v36, s18, v98
	v_mul_lo_u16_e32 v51, 17, v100
	v_lshlrev_b64 v[34:35], 4, v[34:35]
	v_sub_u16_e32 v101, v50, v51
	v_mad_u64_u32 v[58:59], s[12:13], s16, v101, 0
	v_mov_b32_e32 v3, s8
	v_add_co_u32_e32 v50, vcc, s6, v34
	v_addc_co_u32_e32 v51, vcc, v3, v35, vcc
	v_lshlrev_b64 v[34:35], 4, v[36:37]
	v_mov_b32_e32 v3, v59
	v_add_co_u32_e32 v34, vcc, v50, v34
	v_mad_u64_u32 v[59:60], s[12:13], s17, v101, v[3:4]
	v_addc_co_u32_e32 v35, vcc, v51, v35, vcc
	global_load_dwordx4 v[50:53], v[1:2], off
	global_load_dwordx4 v[54:57], v[34:35], off
	v_add_u16_e32 v34, 0x618, v0
	v_mul_u32_u24_e32 v35, 0xf10, v34
	v_lshrrev_b32_e32 v102, 16, v35
	v_mul_lo_u32 v36, s18, v100
	v_mul_lo_u16_e32 v35, 17, v102
	v_lshlrev_b64 v[1:2], 4, v[58:59]
	v_sub_u16_e32 v103, v34, v35
	v_mad_u64_u32 v[34:35], s[12:13], s16, v103, 0
	v_mov_b32_e32 v3, s8
	v_add_co_u32_e32 v58, vcc, s6, v1
	v_addc_co_u32_e32 v59, vcc, v3, v2, vcc
	v_lshlrev_b64 v[1:2], 4, v[36:37]
	v_mov_b32_e32 v3, v35
	v_add_co_u32_e32 v1, vcc, v58, v1
	v_add_u16_e32 v58, 0x690, v0
	v_mad_u64_u32 v[35:36], s[12:13], s17, v103, v[3:4]
	v_addc_co_u32_e32 v2, vcc, v59, v2, vcc
	v_mul_u32_u24_e32 v59, 0xf10, v58
	v_lshrrev_b32_e32 v104, 16, v59
	v_mul_lo_u16_e32 v59, 17, v104
	v_mul_lo_u32 v36, s18, v102
	v_sub_u16_e32 v105, v58, v59
	v_lshlrev_b64 v[34:35], 4, v[34:35]
	v_mad_u64_u32 v[66:67], s[12:13], s16, v105, 0
	v_mov_b32_e32 v3, s8
	v_add_co_u32_e32 v58, vcc, s6, v34
	v_addc_co_u32_e32 v59, vcc, v3, v35, vcc
	v_lshlrev_b64 v[34:35], 4, v[36:37]
	v_mov_b32_e32 v3, v67
	v_mad_u64_u32 v[67:68], s[12:13], s17, v105, v[3:4]
	v_add_co_u32_e32 v34, vcc, v58, v34
	v_addc_co_u32_e32 v35, vcc, v59, v35, vcc
	global_load_dwordx4 v[58:61], v[1:2], off
	global_load_dwordx4 v[62:65], v[34:35], off
	v_add_u16_e32 v34, 0x708, v0
	v_mul_u32_u24_e32 v35, 0xf10, v34
	v_mul_lo_u32 v36, s18, v104
	v_lshrrev_b32_e32 v106, 16, v35
	v_lshlrev_b64 v[1:2], 4, v[66:67]
	v_mul_lo_u16_e32 v35, 17, v106
	v_sub_u16_e32 v107, v34, v35
	v_mov_b32_e32 v3, s8
	v_mad_u64_u32 v[34:35], s[12:13], s16, v107, 0
	v_add_co_u32_e32 v66, vcc, s6, v1
	v_addc_co_u32_e32 v67, vcc, v3, v2, vcc
	v_lshlrev_b64 v[1:2], 4, v[36:37]
	s_movk_i32 s9, 0xf10
	v_add_co_u32_e32 v1, vcc, v66, v1
	v_or_b32_e32 v66, 0x780, v0
	v_mov_b32_e32 v3, v35
	v_addc_co_u32_e32 v2, vcc, v67, v2, vcc
	v_mul_u32_u24_sdwa v67, v66, s9 dst_sel:DWORD dst_unused:UNUSED_PAD src0_sel:WORD_0 src1_sel:DWORD
	v_mad_u64_u32 v[35:36], s[12:13], s17, v107, v[3:4]
	v_lshrrev_b32_e32 v108, 16, v67
	v_mul_lo_u16_e32 v67, 17, v108
	v_sub_u16_e32 v109, v66, v67
	v_mad_u64_u32 v[70:71], s[12:13], s16, v109, 0
	v_lshlrev_b64 v[34:35], 4, v[34:35]
	v_mul_lo_u32 v36, s18, v106
	v_mov_b32_e32 v3, s8
	v_add_co_u32_e32 v66, vcc, s6, v34
	v_addc_co_u32_e32 v67, vcc, v3, v35, vcc
	v_mov_b32_e32 v3, v71
	v_mad_u64_u32 v[71:72], s[12:13], s17, v109, v[3:4]
	v_lshlrev_b64 v[34:35], 4, v[36:37]
	v_mul_lo_u32 v36, s18, v108
	v_add_co_u32_e32 v34, vcc, v66, v34
	v_addc_co_u32_e32 v35, vcc, v67, v35, vcc
	global_load_dwordx4 v[66:69], v[1:2], off
	v_lshlrev_b64 v[1:2], 4, v[70:71]
	v_mov_b32_e32 v3, s8
	v_add_co_u32_e32 v74, vcc, s6, v1
	v_addc_co_u32_e32 v3, vcc, v3, v2, vcc
	v_lshlrev_b64 v[1:2], 4, v[36:37]
	global_load_dwordx4 v[70:73], v[34:35], off
	v_add_co_u32_e32 v1, vcc, v74, v1
	v_addc_co_u32_e32 v2, vcc, v3, v2, vcc
	global_load_dwordx4 v[74:77], v[1:2], off
	v_mul_u32_u24_e32 v1, 0x120, v4
	v_lshlrev_b32_e32 v2, 4, v5
	v_add3_u32 v1, 0, v1, v2
	s_waitcnt vmcnt(16)
	ds_write_b128 v1, v[6:9]
	v_mul_u32_u24_e32 v1, 0x120, v78
	v_lshlrev_b32_e32 v2, 4, v79
	v_add3_u32 v1, 0, v1, v2
	s_waitcnt vmcnt(15)
	ds_write_b128 v1, v[10:13]
	;; [unrolled: 5-line block ×9, first 2 shown]
	s_mov_b32 s6, 0x88888889
	v_add_u32_e32 v1, s57, v0
	v_mul_hi_u32 v3, v1, s6
	v_mul_u32_u24_e32 v2, 0x120, v94
	v_lshlrev_b32_e32 v4, 4, v95
	v_add3_u32 v2, 0, v2, v4
	s_waitcnt vmcnt(7)
	ds_write_b128 v2, v[46:49]
	v_mul_u32_u24_e32 v2, 0x120, v96
	v_lshlrev_b32_e32 v4, 4, v97
	s_movk_i32 s6, 0x78
	v_lshrrev_b32_e32 v3, 6, v3
	v_add3_u32 v2, 0, v2, v4
	v_mul_lo_u32 v3, v3, s6
	s_waitcnt vmcnt(6)
	ds_write_b128 v2, v[50:53]
	v_mul_u32_u24_e32 v2, 0x120, v98
	v_lshlrev_b32_e32 v4, 4, v99
	v_add3_u32 v2, 0, v2, v4
	s_waitcnt vmcnt(5)
	ds_write_b128 v2, v[54:57]
	v_mul_u32_u24_e32 v2, 0x120, v100
	v_lshlrev_b32_e32 v4, 4, v101
	v_add3_u32 v2, 0, v2, v4
	s_waitcnt vmcnt(4)
	ds_write_b128 v2, v[58:61]
	v_sub_u32_e32 v1, v1, v3
	v_mul_u32_u24_e32 v2, 0x120, v102
	v_lshlrev_b32_e32 v3, 4, v103
	v_add3_u32 v2, 0, v2, v3
	s_waitcnt vmcnt(3)
	ds_write_b128 v2, v[62:65]
	v_mul_u32_u24_e32 v2, 0x120, v104
	v_lshlrev_b32_e32 v3, 4, v105
	v_add3_u32 v2, 0, v2, v3
	s_waitcnt vmcnt(2)
	ds_write_b128 v2, v[66:69]
	v_mul_u32_u24_e32 v2, 0x120, v106
	v_lshlrev_b32_e32 v3, 4, v107
	v_add3_u32 v2, 0, v2, v3
	s_movk_i32 s8, 0x120
	v_lshlrev_b32_e32 v3, 4, v109
	v_mad_u32_u24 v122, v1, s8, 0
	s_mov_b32 s24, 0x6c9a05f6
	s_waitcnt vmcnt(1)
	ds_write_b128 v2, v[70:73]
	v_mul_u32_u24_e32 v2, 0x120, v108
	v_add3_u32 v2, 0, v2, v3
	s_mov_b32 s25, 0xbfe9895b
	s_mov_b32 s38, 0xeb564b22
	s_waitcnt vmcnt(0)
	ds_write_b128 v2, v[74:77]
	s_waitcnt lgkmcnt(0)
	s_barrier
	ds_read_b128 v[5:8], v122
	ds_read_b128 v[38:41], v122 offset:16
	ds_read_b128 v[42:45], v122 offset:32
	;; [unrolled: 1-line block ×9, first 2 shown]
	s_waitcnt lgkmcnt(8)
	v_add_f64 v[1:2], v[5:6], v[38:39]
	v_add_f64 v[3:4], v[7:8], v[40:41]
	ds_read_b128 v[21:24], v122 offset:160
	ds_read_b128 v[29:32], v122 offset:176
	;; [unrolled: 1-line block ×7, first 2 shown]
	s_mov_b32 s18, 0x923c349f
	s_mov_b32 s22, 0x6ed5f1bb
	s_waitcnt lgkmcnt(14)
	v_add_f64 v[1:2], v[1:2], v[42:43]
	v_add_f64 v[3:4], v[3:4], v[44:45]
	s_waitcnt lgkmcnt(0)
	v_add_f64 v[96:97], v[40:41], -v[76:77]
	v_add_f64 v[94:95], v[38:39], v[74:75]
	v_add_f64 v[33:34], v[40:41], v[76:77]
	v_add_f64 v[35:36], v[38:39], -v[74:75]
	v_add_f64 v[40:41], v[42:43], v[46:47]
	v_add_f64 v[42:43], v[42:43], -v[46:47]
	v_add_f64 v[1:2], v[1:2], v[50:51]
	v_add_f64 v[3:4], v[3:4], v[52:53]
	s_mov_b32 s28, 0x4363dd80
	s_mov_b32 s36, 0xacd6c6b4
	;; [unrolled: 1-line block ×6, first 2 shown]
	v_add_f64 v[1:2], v[1:2], v[58:59]
	v_add_f64 v[3:4], v[3:4], v[60:61]
	s_mov_b32 s19, 0xbfeec746
	s_mov_b32 s23, 0xbfe348c8
	;; [unrolled: 1-line block ×4, first 2 shown]
	v_add_f64 v[38:39], v[44:45], v[48:49]
	v_add_f64 v[44:45], v[44:45], -v[48:49]
	v_add_f64 v[1:2], v[1:2], v[66:67]
	v_add_f64 v[3:4], v[3:4], v[68:69]
	;; [unrolled: 1-line block ×4, first 2 shown]
	v_add_f64 v[82:83], v[17:18], -v[21:22]
	v_add_f64 v[84:85], v[19:20], -v[23:24]
	v_add_f64 v[88:89], v[9:10], v[13:14]
	v_add_f64 v[86:87], v[11:12], v[15:16]
	v_add_f64 v[1:2], v[1:2], v[25:26]
	v_add_f64 v[3:4], v[3:4], v[27:28]
	v_add_f64 v[90:91], v[9:10], -v[13:14]
	v_add_f64 v[92:93], v[11:12], -v[15:16]
	v_mul_f64 v[106:107], v[35:36], s[48:49]
	s_mov_b32 s20, 0x370991
	s_mov_b32 s16, 0x75d4884
	s_mov_b32 s12, 0x2b2883cd
	v_add_f64 v[1:2], v[1:2], v[17:18]
	v_add_f64 v[3:4], v[3:4], v[19:20]
	v_mul_f64 v[17:18], v[96:97], s[30:31]
	v_mul_f64 v[19:20], v[96:97], s[38:39]
	s_mov_b32 s8, 0x3259b75e
	s_mov_b32 s14, 0xc61f0d01
	;; [unrolled: 1-line block ×4, first 2 shown]
	v_add_f64 v[1:2], v[1:2], v[9:10]
	v_add_f64 v[3:4], v[3:4], v[11:12]
	v_mul_f64 v[9:10], v[96:97], s[40:41]
	s_mov_b32 s21, 0x3fedd6d0
	s_mov_b32 s17, 0x3fe7a5f6
	;; [unrolled: 1-line block ×5, first 2 shown]
	v_add_f64 v[1:2], v[1:2], v[13:14]
	v_add_f64 v[3:4], v[3:4], v[15:16]
	v_mul_f64 v[15:16], v[96:97], s[48:49]
	s_mov_b32 s27, 0xbfeb34fa
	s_mov_b32 s35, 0xbfef7484
	v_fma_f64 v[11:12], v[94:95], s[20:21], -v[17:18]
	v_fma_f64 v[13:14], v[94:95], s[20:21], v[17:18]
	v_fma_f64 v[17:18], v[94:95], s[16:17], -v[9:10]
	v_add_f64 v[1:2], v[1:2], v[21:22]
	v_add_f64 v[3:4], v[3:4], v[23:24]
	v_mul_f64 v[23:24], v[96:97], s[18:19]
	v_fma_f64 v[9:10], v[94:95], s[16:17], v[9:10]
	v_fma_f64 v[21:22], v[94:95], s[12:13], -v[15:16]
	v_fma_f64 v[15:16], v[94:95], s[12:13], v[15:16]
	v_mul_f64 v[110:111], v[35:36], s[38:39]
	v_mul_f64 v[112:113], v[35:36], s[18:19]
	v_add_f64 v[1:2], v[1:2], v[29:30]
	v_add_f64 v[3:4], v[3:4], v[31:32]
	v_fma_f64 v[114:115], v[33:34], s[12:13], v[106:107]
	v_mul_f64 v[116:117], v[35:36], s[24:25]
	v_fma_f64 v[106:107], v[33:34], s[12:13], -v[106:107]
	v_mul_f64 v[118:119], v[35:36], s[28:29]
	v_mul_f64 v[143:144], v[44:45], s[40:41]
	;; [unrolled: 1-line block ×3, first 2 shown]
	v_add_f64 v[1:2], v[1:2], v[70:71]
	v_add_f64 v[3:4], v[3:4], v[72:73]
	v_fma_f64 v[120:121], v[33:34], s[8:9], v[110:111]
	v_fma_f64 v[110:111], v[33:34], s[8:9], -v[110:111]
	v_fma_f64 v[125:126], v[33:34], s[14:15], v[112:113]
	v_fma_f64 v[112:113], v[33:34], s[14:15], -v[112:113]
	v_fma_f64 v[127:128], v[33:34], s[22:23], v[116:117]
	v_fma_f64 v[129:130], v[33:34], s[22:23], -v[116:117]
	v_add_f64 v[1:2], v[1:2], v[62:63]
	v_add_f64 v[3:4], v[3:4], v[64:65]
	v_fma_f64 v[131:132], v[33:34], s[26:27], v[118:119]
	v_fma_f64 v[133:134], v[33:34], s[26:27], -v[118:119]
	v_add_f64 v[11:12], v[5:6], v[11:12]
	v_add_f64 v[149:150], v[7:8], v[106:107]
	v_fma_f64 v[106:107], v[38:39], s[16:17], v[145:146]
	v_add_f64 v[147:148], v[7:8], v[114:115]
	v_add_f64 v[1:2], v[1:2], v[54:55]
	;; [unrolled: 1-line block ×12, first 2 shown]
	v_add_f64 v[52:53], v[52:53], -v[56:57]
	v_add_f64 v[56:57], v[58:59], v[62:63]
	v_add_f64 v[58:59], v[58:59], -v[62:63]
	v_add_f64 v[62:63], v[66:67], v[70:71]
	;; [unrolled: 2-line block ×3, first 2 shown]
	v_add_f64 v[70:71], v[25:26], v[29:30]
	v_add_f64 v[74:75], v[25:26], -v[29:30]
	v_mul_f64 v[29:30], v[96:97], s[24:25]
	v_add_f64 v[3:4], v[3:4], v[76:77]
	v_add_f64 v[48:49], v[50:51], v[54:55]
	v_add_f64 v[50:51], v[50:51], -v[54:55]
	v_add_f64 v[54:55], v[60:61], v[64:65]
	v_add_f64 v[60:61], v[60:61], -v[64:65]
	;; [unrolled: 2-line block ×4, first 2 shown]
	v_mul_f64 v[31:32], v[96:97], s[28:29]
	v_mul_f64 v[96:97], v[96:97], s[36:37]
	v_fma_f64 v[98:99], v[94:95], s[22:23], -v[29:30]
	v_fma_f64 v[100:101], v[94:95], s[22:23], v[29:30]
	v_mul_f64 v[29:30], v[35:36], s[30:31]
	v_fma_f64 v[25:26], v[94:95], s[8:9], -v[19:20]
	v_fma_f64 v[19:20], v[94:95], s[8:9], v[19:20]
	v_fma_f64 v[27:28], v[94:95], s[14:15], -v[23:24]
	v_fma_f64 v[23:24], v[94:95], s[14:15], v[23:24]
	;; [unrolled: 2-line block ×3, first 2 shown]
	v_mul_f64 v[31:32], v[35:36], s[40:41]
	v_fma_f64 v[123:124], v[94:95], s[34:35], -v[96:97]
	v_fma_f64 v[94:95], v[94:95], s[34:35], v[96:97]
	v_fma_f64 v[96:97], v[33:34], s[20:21], v[29:30]
	v_mul_f64 v[35:36], v[35:36], s[36:37]
	v_fma_f64 v[29:30], v[33:34], s[20:21], -v[29:30]
	v_mul_f64 v[153:154], v[52:53], s[48:49]
	v_mul_f64 v[155:156], v[50:51], s[48:49]
	v_fma_f64 v[108:109], v[33:34], s[16:17], v[31:32]
	v_fma_f64 v[31:32], v[33:34], s[16:17], -v[31:32]
	v_add_f64 v[157:158], v[5:6], v[19:20]
	v_mul_f64 v[161:162], v[58:59], s[38:39]
	v_fma_f64 v[135:136], v[33:34], s[34:35], v[35:36]
	v_fma_f64 v[33:34], v[33:34], s[34:35], -v[35:36]
	v_add_f64 v[35:36], v[7:8], v[96:97]
	v_fma_f64 v[96:97], v[40:41], s[16:17], -v[143:144]
	v_add_f64 v[137:138], v[7:8], v[29:30]
	v_add_f64 v[141:142], v[7:8], v[31:32]
	;; [unrolled: 1-line block ×4, first 2 shown]
	v_fma_f64 v[27:28], v[48:49], s[12:13], -v[153:154]
	v_mul_f64 v[125:126], v[60:61], s[38:39]
	v_add_f64 v[19:20], v[106:107], v[35:36]
	v_add_f64 v[11:12], v[96:97], v[11:12]
	v_fma_f64 v[35:36], v[46:47], s[12:13], v[155:156]
	v_add_f64 v[120:121], v[5:6], v[23:24]
	v_mul_f64 v[127:128], v[66:67], s[18:19]
	v_add_f64 v[106:107], v[7:8], v[131:132]
	v_mul_f64 v[129:130], v[76:77], s[24:25]
	v_fma_f64 v[23:24], v[56:57], s[8:9], -v[125:126]
	v_mul_f64 v[131:132], v[74:75], s[24:25]
	v_add_f64 v[11:12], v[27:28], v[11:12]
	v_add_f64 v[19:20], v[35:36], v[19:20]
	v_fma_f64 v[27:28], v[54:55], s[8:9], v[161:162]
	v_mul_f64 v[35:36], v[68:69], s[18:19]
	v_add_f64 v[139:140], v[7:8], v[108:109]
	v_add_f64 v[112:113], v[5:6], v[100:101]
	;; [unrolled: 1-line block ×7, first 2 shown]
	v_fma_f64 v[23:24], v[62:63], s[14:15], -v[35:36]
	v_fma_f64 v[27:28], v[64:65], s[14:15], v[127:128]
	v_mul_f64 v[123:124], v[84:85], s[28:29]
	v_mul_f64 v[133:134], v[82:83], s[28:29]
	v_add_f64 v[17:18], v[5:6], v[17:18]
	v_add_f64 v[9:10], v[5:6], v[9:10]
	;; [unrolled: 1-line block ×6, first 2 shown]
	v_fma_f64 v[23:24], v[70:71], s[22:23], -v[129:130]
	v_fma_f64 v[27:28], v[72:73], s[22:23], v[131:132]
	v_add_f64 v[25:26], v[5:6], v[25:26]
	v_add_f64 v[116:117], v[5:6], v[98:99]
	;; [unrolled: 1-line block ×6, first 2 shown]
	v_fma_f64 v[5:6], v[40:41], s[16:17], v[143:144]
	v_fma_f64 v[7:8], v[38:39], s[16:17], -v[145:146]
	v_add_f64 v[11:12], v[23:24], v[11:12]
	v_add_f64 v[19:20], v[27:28], v[19:20]
	v_fma_f64 v[23:24], v[78:79], s[26:27], -v[123:124]
	v_fma_f64 v[27:28], v[80:81], s[26:27], v[133:134]
	v_mul_f64 v[33:34], v[92:93], s[36:37]
	v_mul_f64 v[135:136], v[90:91], s[36:37]
	v_add_f64 v[5:6], v[5:6], v[13:14]
	v_add_f64 v[7:8], v[7:8], v[137:138]
	v_fma_f64 v[13:14], v[48:49], s[12:13], v[153:154]
	v_fma_f64 v[137:138], v[46:47], s[12:13], -v[155:156]
	v_add_f64 v[11:12], v[23:24], v[11:12]
	v_add_f64 v[19:20], v[27:28], v[19:20]
	v_fma_f64 v[23:24], v[88:89], s[34:35], -v[33:34]
	v_fma_f64 v[27:28], v[86:87], s[34:35], v[135:136]
	v_mul_f64 v[143:144], v[44:45], s[38:39]
	v_mul_f64 v[145:146], v[42:43], s[38:39]
	v_add_f64 v[13:14], v[13:14], v[5:6]
	v_add_f64 v[137:138], v[137:138], v[7:8]
	;; [unrolled: 10-line block ×3, first 2 shown]
	v_fma_f64 v[35:36], v[62:63], s[14:15], v[35:36]
	v_fma_f64 v[127:128], v[64:65], s[14:15], -v[127:128]
	v_add_f64 v[11:12], v[11:12], v[17:18]
	v_add_f64 v[17:18], v[19:20], v[139:140]
	v_fma_f64 v[19:20], v[48:49], s[22:23], -v[23:24]
	v_fma_f64 v[137:138], v[46:47], s[22:23], v[27:28]
	v_mul_f64 v[139:140], v[60:61], s[36:37]
	v_mul_f64 v[153:154], v[58:59], s[36:37]
	s_mov_b32 s53, 0x3fe0d888
	s_mov_b32 s52, s28
	v_add_f64 v[13:14], v[35:36], v[13:14]
	v_add_f64 v[35:36], v[127:128], v[125:126]
	v_fma_f64 v[125:126], v[70:71], s[22:23], v[129:130]
	v_fma_f64 v[127:128], v[72:73], s[22:23], -v[131:132]
	v_add_f64 v[11:12], v[19:20], v[11:12]
	v_add_f64 v[17:18], v[137:138], v[17:18]
	v_fma_f64 v[19:20], v[56:57], s[34:35], -v[139:140]
	v_fma_f64 v[129:130], v[54:55], s[34:35], v[153:154]
	v_mul_f64 v[131:132], v[68:69], s[52:53]
	v_mul_f64 v[137:138], v[66:67], s[52:53]
	s_mov_b32 s51, 0x3feec746
	s_mov_b32 s50, s18
	v_add_f64 v[13:14], v[125:126], v[13:14]
	v_add_f64 v[35:36], v[127:128], v[35:36]
	v_fma_f64 v[123:124], v[78:79], s[26:27], v[123:124]
	v_add_f64 v[11:12], v[19:20], v[11:12]
	v_add_f64 v[17:18], v[129:130], v[17:18]
	v_fma_f64 v[19:20], v[62:63], s[26:27], -v[131:132]
	v_fma_f64 v[127:128], v[64:65], s[26:27], v[137:138]
	v_mul_f64 v[129:130], v[76:77], s[50:51]
	v_fma_f64 v[125:126], v[80:81], s[26:27], -v[133:134]
	v_fma_f64 v[133:134], v[38:39], s[8:9], -v[145:146]
	v_add_f64 v[13:14], v[123:124], v[13:14]
	v_mul_f64 v[123:124], v[74:75], s[50:51]
	s_mov_b32 s43, 0x3feca52d
	v_add_f64 v[11:12], v[19:20], v[11:12]
	v_add_f64 v[17:18], v[127:128], v[17:18]
	v_fma_f64 v[19:20], v[70:71], s[14:15], -v[129:130]
	v_fma_f64 v[127:128], v[40:41], s[8:9], v[143:144]
	s_mov_b32 s42, s48
	v_add_f64 v[35:36], v[125:126], v[35:36]
	v_fma_f64 v[33:34], v[88:89], s[34:35], v[33:34]
	v_fma_f64 v[125:126], v[86:87], s[34:35], -v[135:136]
	v_fma_f64 v[135:136], v[72:73], s[14:15], v[123:124]
	v_mul_f64 v[143:144], v[84:85], s[42:43]
	v_mul_f64 v[145:146], v[82:83], s[42:43]
	v_add_f64 v[19:20], v[19:20], v[11:12]
	v_add_f64 v[9:10], v[127:128], v[9:10]
	;; [unrolled: 1-line block ×3, first 2 shown]
	v_fma_f64 v[23:24], v[48:49], s[22:23], v[23:24]
	v_fma_f64 v[27:28], v[46:47], s[22:23], -v[27:28]
	v_add_f64 v[17:18], v[135:136], v[17:18]
	v_fma_f64 v[127:128], v[78:79], s[12:13], -v[143:144]
	v_fma_f64 v[133:134], v[80:81], s[12:13], v[145:146]
	v_fma_f64 v[139:140], v[56:57], s[34:35], v[139:140]
	v_fma_f64 v[141:142], v[54:55], s[34:35], -v[153:154]
	s_mov_b32 s45, 0x3fc7851a
	v_add_f64 v[23:24], v[23:24], v[9:10]
	v_add_f64 v[27:28], v[27:28], v[11:12]
	;; [unrolled: 1-line block ×3, first 2 shown]
	v_mul_f64 v[33:34], v[44:45], s[24:25]
	s_mov_b32 s44, s36
	v_add_f64 v[11:12], v[125:126], v[35:36]
	v_add_f64 v[13:14], v[127:128], v[19:20]
	;; [unrolled: 1-line block ×5, first 2 shown]
	v_fma_f64 v[35:36], v[62:63], s[26:27], v[131:132]
	v_fma_f64 v[125:126], v[64:65], s[26:27], -v[137:138]
	v_fma_f64 v[131:132], v[40:41], s[22:23], -v[33:34]
	v_mul_f64 v[133:134], v[42:43], s[24:25]
	v_mul_f64 v[137:138], v[52:53], s[44:45]
	s_mov_b32 s47, 0x3fd71e95
	s_mov_b32 s46, s30
	v_mul_f64 v[135:136], v[92:93], s[46:47]
	v_add_f64 v[23:24], v[35:36], v[23:24]
	v_add_f64 v[27:28], v[125:126], v[27:28]
	v_fma_f64 v[35:36], v[70:71], s[14:15], v[129:130]
	v_fma_f64 v[123:124], v[72:73], s[14:15], -v[123:124]
	v_add_f64 v[21:22], v[131:132], v[21:22]
	v_fma_f64 v[129:130], v[38:39], s[22:23], v[133:134]
	v_fma_f64 v[131:132], v[48:49], s[34:35], -v[137:138]
	v_mul_f64 v[139:140], v[50:51], s[44:45]
	v_mul_f64 v[141:142], v[60:61], s[50:51]
	s_mov_b32 s45, 0x3fe58eea
	s_mov_b32 s44, s40
	v_fma_f64 v[17:18], v[88:89], s[20:21], -v[135:136]
	v_mul_f64 v[127:128], v[90:91], s[46:47]
	v_add_f64 v[23:24], v[35:36], v[23:24]
	v_add_f64 v[27:28], v[123:124], v[27:28]
	v_fma_f64 v[35:36], v[78:79], s[12:13], v[143:144]
	v_fma_f64 v[123:124], v[80:81], s[12:13], -v[145:146]
	v_add_f64 v[129:130], v[129:130], v[147:148]
	v_add_f64 v[21:22], v[131:132], v[21:22]
	v_fma_f64 v[131:132], v[46:47], s[34:35], v[139:140]
	v_fma_f64 v[143:144], v[56:57], s[14:15], -v[141:142]
	v_mul_f64 v[147:148], v[68:69], s[44:45]
	v_fma_f64 v[125:126], v[86:87], s[20:21], v[127:128]
	v_mul_f64 v[145:146], v[58:59], s[50:51]
	v_add_f64 v[17:18], v[17:18], v[13:14]
	v_add_f64 v[13:14], v[35:36], v[23:24]
	;; [unrolled: 1-line block ×5, first 2 shown]
	v_fma_f64 v[123:124], v[62:63], s[16:17], -v[147:148]
	v_mul_f64 v[129:130], v[76:77], s[30:31]
	v_fma_f64 v[33:34], v[40:41], s[22:23], v[33:34]
	v_fma_f64 v[133:134], v[38:39], s[22:23], -v[133:134]
	v_add_f64 v[19:20], v[125:126], v[19:20]
	v_fma_f64 v[35:36], v[54:55], s[14:15], v[145:146]
	v_mul_f64 v[125:126], v[66:67], s[44:45]
	v_fma_f64 v[131:132], v[88:89], s[20:21], v[135:136]
	v_fma_f64 v[127:128], v[86:87], s[20:21], -v[127:128]
	v_add_f64 v[21:22], v[123:124], v[21:22]
	v_fma_f64 v[123:124], v[70:71], s[20:21], -v[129:130]
	v_mul_f64 v[143:144], v[84:85], s[38:39]
	v_add_f64 v[15:16], v[33:34], v[15:16]
	v_add_f64 v[33:34], v[133:134], v[149:150]
	v_fma_f64 v[133:134], v[48:49], s[34:35], v[137:138]
	v_fma_f64 v[137:138], v[46:47], s[34:35], -v[139:140]
	v_add_f64 v[27:28], v[35:36], v[27:28]
	v_fma_f64 v[35:36], v[64:65], s[16:17], v[125:126]
	v_mul_f64 v[135:136], v[74:75], s[30:31]
	v_add_f64 v[13:14], v[131:132], v[13:14]
	v_add_f64 v[21:22], v[123:124], v[21:22]
	v_fma_f64 v[131:132], v[78:79], s[8:9], -v[143:144]
	v_add_f64 v[133:134], v[133:134], v[15:16]
	v_add_f64 v[33:34], v[137:138], v[33:34]
	v_fma_f64 v[137:138], v[56:57], s[14:15], v[141:142]
	v_fma_f64 v[139:140], v[54:55], s[14:15], -v[145:146]
	v_add_f64 v[15:16], v[127:128], v[23:24]
	v_mul_f64 v[127:128], v[44:45], s[36:37]
	v_add_f64 v[27:28], v[35:36], v[27:28]
	v_fma_f64 v[35:36], v[72:73], s[20:21], v[135:136]
	v_mul_f64 v[123:124], v[82:83], s[38:39]
	v_add_f64 v[21:22], v[131:132], v[21:22]
	v_add_f64 v[131:132], v[137:138], v[133:134]
	;; [unrolled: 1-line block ×3, first 2 shown]
	v_fma_f64 v[133:134], v[62:63], s[16:17], v[147:148]
	v_fma_f64 v[125:126], v[64:65], s[16:17], -v[125:126]
	v_fma_f64 v[139:140], v[40:41], s[34:35], -v[127:128]
	v_mul_f64 v[141:142], v[42:43], s[36:37]
	v_mul_f64 v[145:146], v[52:53], s[50:51]
	v_add_f64 v[23:24], v[35:36], v[27:28]
	v_fma_f64 v[27:28], v[80:81], s[8:9], v[123:124]
	v_mul_f64 v[35:36], v[92:93], s[28:29]
	v_mul_f64 v[137:138], v[90:91], s[28:29]
	v_add_f64 v[131:132], v[133:134], v[131:132]
	v_add_f64 v[33:34], v[125:126], v[33:34]
	v_fma_f64 v[125:126], v[70:71], s[20:21], v[129:130]
	v_fma_f64 v[129:130], v[72:73], s[20:21], -v[135:136]
	v_add_f64 v[25:26], v[139:140], v[25:26]
	v_fma_f64 v[135:136], v[38:39], s[34:35], v[141:142]
	v_fma_f64 v[139:140], v[48:49], s[14:15], -v[145:146]
	v_mul_f64 v[147:148], v[50:51], s[50:51]
	v_add_f64 v[23:24], v[27:28], v[23:24]
	v_fma_f64 v[27:28], v[88:89], s[26:27], -v[35:36]
	v_fma_f64 v[133:134], v[86:87], s[26:27], v[137:138]
	v_mul_f64 v[149:150], v[60:61], s[46:47]
	v_add_f64 v[125:126], v[125:126], v[131:132]
	v_add_f64 v[33:34], v[129:130], v[33:34]
	v_fma_f64 v[129:130], v[78:79], s[8:9], v[143:144]
	v_fma_f64 v[123:124], v[80:81], s[8:9], -v[123:124]
	v_add_f64 v[131:132], v[135:136], v[151:152]
	v_add_f64 v[135:136], v[139:140], v[25:26]
	v_fma_f64 v[139:140], v[46:47], s[14:15], v[147:148]
	v_mul_f64 v[151:152], v[58:59], s[46:47]
	v_fma_f64 v[143:144], v[56:57], s[20:21], -v[149:150]
	v_mul_f64 v[153:154], v[68:69], s[48:49]
	v_add_f64 v[25:26], v[27:28], v[21:22]
	v_add_f64 v[27:28], v[133:134], v[23:24]
	;; [unrolled: 1-line block ×5, first 2 shown]
	v_fma_f64 v[125:126], v[54:55], s[20:21], v[151:152]
	v_fma_f64 v[127:128], v[40:41], s[34:35], v[127:128]
	v_fma_f64 v[131:132], v[38:39], s[34:35], -v[141:142]
	v_add_f64 v[123:124], v[143:144], v[135:136]
	v_fma_f64 v[129:130], v[62:63], s[12:13], -v[153:154]
	v_fma_f64 v[133:134], v[86:87], s[26:27], -v[137:138]
	v_mul_f64 v[135:136], v[66:67], s[48:49]
	v_mul_f64 v[137:138], v[76:77], s[28:29]
	v_add_f64 v[33:34], v[125:126], v[33:34]
	v_add_f64 v[125:126], v[127:128], v[157:158]
	;; [unrolled: 1-line block ×3, first 2 shown]
	v_fma_f64 v[131:132], v[46:47], s[14:15], -v[147:148]
	v_add_f64 v[123:124], v[129:130], v[123:124]
	v_fma_f64 v[129:130], v[48:49], s[14:15], v[145:146]
	s_mov_b32 s55, 0x3fe9895b
	s_mov_b32 s54, s24
	v_fma_f64 v[35:36], v[88:89], s[26:27], v[35:36]
	v_fma_f64 v[139:140], v[64:65], s[12:13], v[135:136]
	v_fma_f64 v[141:142], v[70:71], s[26:27], -v[137:138]
	v_add_f64 v[127:128], v[131:132], v[127:128]
	v_fma_f64 v[131:132], v[54:55], s[20:21], -v[151:152]
	v_mul_f64 v[143:144], v[74:75], s[28:29]
	v_mul_f64 v[145:146], v[84:85], s[54:55]
	v_add_f64 v[125:126], v[129:130], v[125:126]
	v_fma_f64 v[129:130], v[56:57], s[20:21], v[149:150]
	v_add_f64 v[21:22], v[35:36], v[21:22]
	v_add_f64 v[33:34], v[139:140], v[33:34]
	;; [unrolled: 1-line block ×4, first 2 shown]
	v_fma_f64 v[131:132], v[64:65], s[12:13], -v[135:136]
	v_mul_f64 v[139:140], v[82:83], s[54:55]
	v_fma_f64 v[141:142], v[78:79], s[22:23], -v[145:146]
	v_add_f64 v[125:126], v[129:130], v[125:126]
	v_fma_f64 v[129:130], v[62:63], s[12:13], v[153:154]
	v_mul_f64 v[135:136], v[44:45], s[52:53]
	v_fma_f64 v[123:124], v[72:73], s[26:27], v[143:144]
	v_mul_f64 v[147:148], v[52:53], s[44:45]
	v_add_f64 v[127:128], v[131:132], v[127:128]
	v_fma_f64 v[131:132], v[72:73], s[26:27], -v[143:144]
	v_add_f64 v[35:36], v[141:142], v[35:36]
	v_mul_f64 v[143:144], v[42:43], s[52:53]
	v_add_f64 v[125:126], v[129:130], v[125:126]
	v_fma_f64 v[129:130], v[70:71], s[26:27], v[137:138]
	v_mul_f64 v[137:138], v[90:91], s[44:45]
	v_fma_f64 v[141:142], v[40:41], s[26:27], -v[135:136]
	v_add_f64 v[23:24], v[133:134], v[23:24]
	v_add_f64 v[127:128], v[131:132], v[127:128]
	v_fma_f64 v[131:132], v[80:81], s[22:23], -v[139:140]
	v_add_f64 v[33:34], v[123:124], v[33:34]
	v_fma_f64 v[123:124], v[80:81], s[22:23], v[139:140]
	v_mul_f64 v[133:134], v[92:93], s[44:45]
	v_add_f64 v[125:126], v[129:130], v[125:126]
	v_fma_f64 v[129:130], v[78:79], s[22:23], v[145:146]
	v_add_f64 v[31:32], v[141:142], v[31:32]
	v_fma_f64 v[141:142], v[38:39], s[26:27], v[143:144]
	v_fma_f64 v[145:146], v[48:49], s[16:17], -v[147:148]
	v_mul_f64 v[149:150], v[50:51], s[44:45]
	v_mul_f64 v[151:152], v[60:61], s[48:49]
	v_add_f64 v[127:128], v[131:132], v[127:128]
	v_fma_f64 v[131:132], v[86:87], s[16:17], -v[137:138]
	v_add_f64 v[123:124], v[123:124], v[33:34]
	v_fma_f64 v[33:34], v[88:89], s[16:17], -v[133:134]
	v_fma_f64 v[139:140], v[86:87], s[16:17], v[137:138]
	v_add_f64 v[125:126], v[129:130], v[125:126]
	v_fma_f64 v[129:130], v[88:89], s[16:17], v[133:134]
	v_add_f64 v[133:134], v[141:142], v[29:30]
	v_add_f64 v[137:138], v[145:146], v[31:32]
	v_fma_f64 v[141:142], v[46:47], s[16:17], v[149:150]
	v_fma_f64 v[145:146], v[56:57], s[12:13], -v[151:152]
	v_mul_f64 v[153:154], v[58:59], s[48:49]
	v_mul_f64 v[155:156], v[68:69], s[36:37]
	v_add_f64 v[31:32], v[131:132], v[127:128]
	v_fma_f64 v[127:128], v[40:41], s[26:27], v[135:136]
	v_add_f64 v[33:34], v[33:34], v[35:36]
	v_add_f64 v[35:36], v[139:140], v[123:124]
	;; [unrolled: 1-line block ×5, first 2 shown]
	v_fma_f64 v[129:130], v[54:55], s[12:13], v[153:154]
	v_fma_f64 v[131:132], v[62:63], s[34:35], -v[155:156]
	v_mul_f64 v[133:134], v[66:67], s[36:37]
	v_fma_f64 v[135:136], v[38:39], s[26:27], -v[143:144]
	v_add_f64 v[120:121], v[127:128], v[120:121]
	v_fma_f64 v[127:128], v[48:49], s[16:17], v[147:148]
	s_mov_b32 s49, 0x3fefdd0d
	s_mov_b32 s48, s38
	v_mul_f64 v[137:138], v[76:77], s[48:49]
	v_add_f64 v[123:124], v[129:130], v[123:124]
	v_fma_f64 v[129:130], v[64:65], s[34:35], v[133:134]
	v_mul_f64 v[139:140], v[74:75], s[48:49]
	v_add_f64 v[125:126], v[131:132], v[125:126]
	v_add_f64 v[118:119], v[135:136], v[118:119]
	v_fma_f64 v[131:132], v[46:47], s[16:17], -v[149:150]
	v_add_f64 v[120:121], v[127:128], v[120:121]
	v_fma_f64 v[127:128], v[56:57], s[12:13], v[151:152]
	v_fma_f64 v[135:136], v[70:71], s[8:9], -v[137:138]
	v_add_f64 v[123:124], v[129:130], v[123:124]
	v_fma_f64 v[129:130], v[72:73], s[8:9], v[139:140]
	v_mul_f64 v[141:142], v[84:85], s[30:31]
	v_mul_f64 v[143:144], v[82:83], s[30:31]
	v_add_f64 v[118:119], v[131:132], v[118:119]
	v_fma_f64 v[131:132], v[54:55], s[12:13], -v[153:154]
	v_add_f64 v[120:121], v[127:128], v[120:121]
	v_fma_f64 v[127:128], v[62:63], s[34:35], v[155:156]
	v_add_f64 v[125:126], v[135:136], v[125:126]
	v_add_f64 v[123:124], v[129:130], v[123:124]
	v_fma_f64 v[129:130], v[78:79], s[20:21], -v[141:142]
	v_fma_f64 v[135:136], v[80:81], s[20:21], v[143:144]
	v_mul_f64 v[145:146], v[92:93], s[24:25]
	v_add_f64 v[118:119], v[131:132], v[118:119]
	v_fma_f64 v[131:132], v[64:65], s[34:35], -v[133:134]
	v_mul_f64 v[133:134], v[90:91], s[24:25]
	v_add_f64 v[120:121], v[127:128], v[120:121]
	v_fma_f64 v[127:128], v[70:71], s[8:9], v[137:138]
	v_add_f64 v[125:126], v[129:130], v[125:126]
	v_add_f64 v[123:124], v[135:136], v[123:124]
	v_fma_f64 v[129:130], v[88:89], s[22:23], -v[145:146]
	v_mul_f64 v[135:136], v[44:45], s[50:51]
	v_add_f64 v[131:132], v[131:132], v[118:119]
	v_fma_f64 v[137:138], v[72:73], s[8:9], -v[139:140]
	v_fma_f64 v[139:140], v[86:87], s[22:23], v[133:134]
	v_add_f64 v[127:128], v[127:128], v[120:121]
	v_fma_f64 v[141:142], v[78:79], s[20:21], v[141:142]
	v_mul_f64 v[147:148], v[42:43], s[50:51]
	v_add_f64 v[118:119], v[129:130], v[125:126]
	v_fma_f64 v[125:126], v[40:41], s[14:15], -v[135:136]
	v_mul_f64 v[129:130], v[52:53], s[30:31]
	v_add_f64 v[131:132], v[137:138], v[131:132]
	v_fma_f64 v[137:138], v[80:81], s[20:21], -v[143:144]
	v_add_f64 v[120:121], v[139:140], v[123:124]
	v_add_f64 v[123:124], v[141:142], v[127:128]
	v_fma_f64 v[127:128], v[38:39], s[14:15], v[147:148]
	v_mul_f64 v[139:140], v[50:51], s[30:31]
	v_add_f64 v[116:117], v[125:126], v[116:117]
	v_fma_f64 v[125:126], v[48:49], s[20:21], -v[129:130]
	v_mul_f64 v[141:142], v[60:61], s[28:29]
	v_add_f64 v[131:132], v[137:138], v[131:132]
	v_fma_f64 v[137:138], v[88:89], s[22:23], v[145:146]
	v_fma_f64 v[133:134], v[86:87], s[22:23], -v[133:134]
	v_add_f64 v[127:128], v[127:128], v[114:115]
	v_fma_f64 v[143:144], v[46:47], s[20:21], v[139:140]
	v_mul_f64 v[145:146], v[58:59], s[28:29]
	v_add_f64 v[125:126], v[125:126], v[116:117]
	v_fma_f64 v[149:150], v[56:57], s[26:27], -v[141:142]
	v_mul_f64 v[151:152], v[68:69], s[48:49]
	v_add_f64 v[114:115], v[137:138], v[123:124]
	v_add_f64 v[116:117], v[133:134], v[131:132]
	v_fma_f64 v[123:124], v[40:41], s[14:15], v[135:136]
	v_add_f64 v[127:128], v[143:144], v[127:128]
	v_fma_f64 v[131:132], v[54:55], s[26:27], v[145:146]
	v_mul_f64 v[133:134], v[66:67], s[48:49]
	v_add_f64 v[125:126], v[149:150], v[125:126]
	v_fma_f64 v[135:136], v[62:63], s[8:9], -v[151:152]
	v_mul_f64 v[137:138], v[76:77], s[40:41]
	v_fma_f64 v[143:144], v[38:39], s[14:15], -v[147:148]
	v_add_f64 v[112:113], v[123:124], v[112:113]
	v_fma_f64 v[123:124], v[48:49], s[20:21], v[129:130]
	v_add_f64 v[127:128], v[131:132], v[127:128]
	v_fma_f64 v[129:130], v[64:65], s[8:9], v[133:134]
	v_mul_f64 v[131:132], v[74:75], s[40:41]
	v_add_f64 v[125:126], v[135:136], v[125:126]
	v_fma_f64 v[135:136], v[70:71], s[16:17], -v[137:138]
	v_add_f64 v[110:111], v[143:144], v[110:111]
	v_fma_f64 v[139:140], v[46:47], s[20:21], -v[139:140]
	v_add_f64 v[112:113], v[123:124], v[112:113]
	v_fma_f64 v[123:124], v[56:57], s[26:27], v[141:142]
	v_add_f64 v[127:128], v[129:130], v[127:128]
	v_fma_f64 v[129:130], v[72:73], s[16:17], v[131:132]
	v_mul_f64 v[141:142], v[84:85], s[36:37]
	v_add_f64 v[125:126], v[135:136], v[125:126]
	v_mul_f64 v[135:136], v[82:83], s[36:37]
	v_add_f64 v[110:111], v[139:140], v[110:111]
	v_fma_f64 v[139:140], v[54:55], s[26:27], -v[145:146]
	v_add_f64 v[112:113], v[123:124], v[112:113]
	v_fma_f64 v[123:124], v[62:63], s[8:9], v[151:152]
	v_add_f64 v[127:128], v[129:130], v[127:128]
	v_fma_f64 v[129:130], v[78:79], s[34:35], -v[141:142]
	v_mul_f64 v[143:144], v[92:93], s[42:43]
	v_fma_f64 v[145:146], v[80:81], s[34:35], v[135:136]
	v_mul_f64 v[147:148], v[90:91], s[42:43]
	v_add_f64 v[110:111], v[139:140], v[110:111]
	v_fma_f64 v[133:134], v[64:65], s[8:9], -v[133:134]
	v_add_f64 v[112:113], v[123:124], v[112:113]
	v_fma_f64 v[123:124], v[70:71], s[16:17], v[137:138]
	v_add_f64 v[125:126], v[129:130], v[125:126]
	v_fma_f64 v[129:130], v[88:89], s[12:13], -v[143:144]
	v_add_f64 v[127:128], v[145:146], v[127:128]
	v_fma_f64 v[137:138], v[86:87], s[12:13], v[147:148]
	v_mul_f64 v[139:140], v[44:45], s[42:43]
	v_add_f64 v[133:134], v[133:134], v[110:111]
	v_fma_f64 v[131:132], v[72:73], s[16:17], -v[131:132]
	v_add_f64 v[123:124], v[123:124], v[112:113]
	v_fma_f64 v[141:142], v[78:79], s[34:35], v[141:142]
	v_add_f64 v[110:111], v[129:130], v[125:126]
	v_mul_f64 v[129:130], v[42:43], s[42:43]
	v_add_f64 v[112:113], v[137:138], v[127:128]
	v_fma_f64 v[125:126], v[40:41], s[12:13], -v[139:140]
	v_mul_f64 v[127:128], v[52:53], s[38:39]
	v_add_f64 v[131:132], v[131:132], v[133:134]
	v_fma_f64 v[133:134], v[80:81], s[34:35], -v[135:136]
	v_add_f64 v[123:124], v[141:142], v[123:124]
	v_fma_f64 v[135:136], v[88:89], s[12:13], v[143:144]
	v_fma_f64 v[137:138], v[38:39], s[12:13], v[129:130]
	v_mul_f64 v[141:142], v[50:51], s[38:39]
	v_add_f64 v[108:109], v[125:126], v[108:109]
	v_fma_f64 v[125:126], v[48:49], s[8:9], -v[127:128]
	v_mul_f64 v[143:144], v[60:61], s[54:55]
	v_add_f64 v[131:132], v[133:134], v[131:132]
	v_fma_f64 v[133:134], v[86:87], s[12:13], -v[147:148]
	v_add_f64 v[123:124], v[135:136], v[123:124]
	v_add_f64 v[106:107], v[137:138], v[106:107]
	v_fma_f64 v[135:136], v[46:47], s[8:9], v[141:142]
	v_mul_f64 v[137:138], v[58:59], s[54:55]
	v_fma_f64 v[139:140], v[40:41], s[12:13], v[139:140]
	v_fma_f64 v[129:130], v[38:39], s[12:13], -v[129:130]
	v_add_f64 v[108:109], v[125:126], v[108:109]
	v_fma_f64 v[145:146], v[56:57], s[22:23], -v[143:144]
	v_mul_f64 v[147:148], v[68:69], s[30:31]
	v_add_f64 v[125:126], v[133:134], v[131:132]
	v_add_f64 v[106:107], v[135:136], v[106:107]
	v_fma_f64 v[131:132], v[54:55], s[22:23], v[137:138]
	v_mul_f64 v[133:134], v[66:67], s[30:31]
	v_add_f64 v[104:105], v[139:140], v[104:105]
	v_fma_f64 v[127:128], v[48:49], s[8:9], v[127:128]
	v_add_f64 v[102:103], v[129:130], v[102:103]
	v_fma_f64 v[129:130], v[46:47], s[8:9], -v[141:142]
	v_add_f64 v[108:109], v[145:146], v[108:109]
	v_fma_f64 v[135:136], v[62:63], s[20:21], -v[147:148]
	v_add_f64 v[106:107], v[131:132], v[106:107]
	v_fma_f64 v[131:132], v[64:65], s[20:21], v[133:134]
	v_mul_f64 v[139:140], v[76:77], s[36:37]
	v_add_f64 v[104:105], v[127:128], v[104:105]
	v_fma_f64 v[127:128], v[56:57], s[22:23], v[143:144]
	v_add_f64 v[102:103], v[129:130], v[102:103]
	v_fma_f64 v[129:130], v[54:55], s[22:23], -v[137:138]
	v_mul_f64 v[141:142], v[74:75], s[36:37]
	v_add_f64 v[108:109], v[135:136], v[108:109]
	v_add_f64 v[106:107], v[131:132], v[106:107]
	v_fma_f64 v[131:132], v[70:71], s[34:35], -v[139:140]
	v_mul_f64 v[137:138], v[84:85], s[44:45]
	v_add_f64 v[104:105], v[127:128], v[104:105]
	v_fma_f64 v[127:128], v[62:63], s[20:21], v[147:148]
	v_add_f64 v[102:103], v[129:130], v[102:103]
	v_fma_f64 v[129:130], v[64:65], s[20:21], -v[133:134]
	v_mul_f64 v[44:45], v[44:45], s[46:47]
	v_mul_f64 v[42:43], v[42:43], s[46:47]
	v_add_f64 v[108:109], v[131:132], v[108:109]
	v_fma_f64 v[131:132], v[78:79], s[16:17], -v[137:138]
	v_mul_f64 v[52:53], v[52:53], s[28:29]
	v_add_f64 v[104:105], v[127:128], v[104:105]
	v_fma_f64 v[127:128], v[70:71], s[34:35], v[139:140]
	v_add_f64 v[102:103], v[129:130], v[102:103]
	v_fma_f64 v[129:130], v[72:73], s[34:35], -v[141:142]
	v_mul_f64 v[50:51], v[50:51], s[28:29]
	v_mul_f64 v[68:69], v[68:69], s[24:25]
	v_add_f64 v[108:109], v[131:132], v[108:109]
	v_fma_f64 v[131:132], v[40:41], s[20:21], -v[44:45]
	v_fma_f64 v[40:41], v[40:41], s[20:21], v[44:45]
	v_add_f64 v[104:105], v[127:128], v[104:105]
	v_fma_f64 v[127:128], v[78:79], s[16:17], v[137:138]
	v_add_f64 v[102:103], v[129:130], v[102:103]
	v_fma_f64 v[129:130], v[38:39], s[20:21], v[42:43]
	v_fma_f64 v[38:39], v[38:39], s[20:21], -v[42:43]
	v_mul_f64 v[44:45], v[60:61], s[44:45]
	v_add_f64 v[100:101], v[131:132], v[100:101]
	v_fma_f64 v[131:132], v[48:49], s[26:27], -v[52:53]
	v_add_f64 v[40:41], v[40:41], v[98:99]
	v_add_f64 v[60:61], v[127:128], v[104:105]
	v_fma_f64 v[127:128], v[46:47], s[26:27], v[50:51]
	v_add_f64 v[96:97], v[129:130], v[96:97]
	v_fma_f64 v[48:49], v[48:49], s[26:27], v[52:53]
	v_mul_f64 v[52:53], v[58:59], s[44:45]
	v_add_f64 v[38:39], v[38:39], v[94:95]
	v_fma_f64 v[46:47], v[46:47], s[26:27], -v[50:51]
	v_add_f64 v[42:43], v[131:132], v[100:101]
	v_fma_f64 v[98:99], v[56:57], s[16:17], -v[44:45]
	v_fma_f64 v[44:45], v[56:57], s[16:17], v[44:45]
	v_add_f64 v[96:97], v[127:128], v[96:97]
	v_add_f64 v[40:41], v[48:49], v[40:41]
	v_fma_f64 v[48:49], v[54:55], s[16:17], v[52:53]
	v_mul_f64 v[56:57], v[66:67], s[24:25]
	v_add_f64 v[38:39], v[46:47], v[38:39]
	v_fma_f64 v[52:53], v[54:55], s[16:17], -v[52:53]
	v_add_f64 v[42:43], v[98:99], v[42:43]
	v_fma_f64 v[66:67], v[62:63], s[22:23], -v[68:69]
	v_mul_f64 v[76:77], v[76:77], s[42:43]
	v_add_f64 v[40:41], v[44:45], v[40:41]
	v_add_f64 v[48:49], v[48:49], v[96:97]
	v_fma_f64 v[44:45], v[64:65], s[22:23], v[56:57]
	v_mul_f64 v[74:75], v[74:75], s[42:43]
	v_add_f64 v[38:39], v[52:53], v[38:39]
	v_fma_f64 v[62:63], v[62:63], s[22:23], v[68:69]
	v_fma_f64 v[56:57], v[64:65], s[22:23], -v[56:57]
	v_fma_f64 v[135:136], v[72:73], s[34:35], v[141:142]
	v_mul_f64 v[143:144], v[82:83], s[44:45]
	v_add_f64 v[42:43], v[66:67], v[42:43]
	v_add_f64 v[44:45], v[44:45], v[48:49]
	v_fma_f64 v[48:49], v[70:71], s[12:13], -v[76:77]
	v_fma_f64 v[64:65], v[72:73], s[12:13], v[74:75]
	v_mul_f64 v[66:67], v[84:85], s[18:19]
	v_mul_f64 v[68:69], v[82:83], s[18:19]
	v_add_f64 v[40:41], v[62:63], v[40:41]
	v_add_f64 v[38:39], v[56:57], v[38:39]
	v_fma_f64 v[56:57], v[70:71], s[12:13], v[76:77]
	v_fma_f64 v[62:63], v[72:73], s[12:13], -v[74:75]
	v_add_f64 v[106:107], v[135:136], v[106:107]
	v_fma_f64 v[133:134], v[80:81], s[16:17], v[143:144]
	v_mul_f64 v[50:51], v[92:93], s[18:19]
	v_mul_f64 v[54:55], v[90:91], s[18:19]
	v_fma_f64 v[104:105], v[80:81], s[16:17], -v[143:144]
	v_add_f64 v[42:43], v[48:49], v[42:43]
	v_add_f64 v[44:45], v[64:65], v[44:45]
	v_fma_f64 v[48:49], v[78:79], s[14:15], -v[66:67]
	v_fma_f64 v[64:65], v[80:81], s[14:15], v[68:69]
	v_mul_f64 v[70:71], v[92:93], s[48:49]
	v_mul_f64 v[72:73], v[90:91], s[48:49]
	v_add_f64 v[40:41], v[56:57], v[40:41]
	v_add_f64 v[38:39], v[62:63], v[38:39]
	v_fma_f64 v[56:57], v[78:79], s[14:15], v[66:67]
	v_fma_f64 v[62:63], v[80:81], s[14:15], -v[68:69]
	v_add_f64 v[106:107], v[133:134], v[106:107]
	v_fma_f64 v[46:47], v[88:89], s[14:15], -v[50:51]
	v_fma_f64 v[52:53], v[86:87], s[14:15], v[54:55]
	v_add_f64 v[58:59], v[104:105], v[102:103]
	v_fma_f64 v[50:51], v[88:89], s[14:15], v[50:51]
	v_fma_f64 v[54:55], v[86:87], s[14:15], -v[54:55]
	v_add_f64 v[48:49], v[48:49], v[42:43]
	v_add_f64 v[64:65], v[64:65], v[44:45]
	v_fma_f64 v[66:67], v[88:89], s[8:9], -v[70:71]
	v_fma_f64 v[68:69], v[86:87], s[8:9], v[72:73]
	v_add_f64 v[56:57], v[56:57], v[40:41]
	v_add_f64 v[62:63], v[62:63], v[38:39]
	v_fma_f64 v[70:71], v[88:89], s[8:9], v[70:71]
	v_fma_f64 v[72:73], v[86:87], s[8:9], -v[72:73]
	v_add_f64 v[38:39], v[46:47], v[108:109]
	v_add_f64 v[40:41], v[52:53], v[106:107]
	;; [unrolled: 1-line block ×8, first 2 shown]
	s_barrier
	ds_write_b128 v122, v[1:4]
	ds_write_b128 v122, v[5:8] offset:16
	ds_write_b128 v122, v[17:20] offset:32
	;; [unrolled: 1-line block ×10, first 2 shown]
	v_mul_u32_u24_e32 v1, 0x223, v0
	v_lshrrev_b32_e32 v4, 16, v1
	v_mul_lo_u16_e32 v1, 0x78, v4
	v_sub_u16_e32 v5, v0, v1
	v_mad_u64_u32 v[1:2], s[12:13], s0, v5, 0
	s_mul_i32 s8, s56, s2
	s_mul_i32 s2, s0, s57
	v_mad_u64_u32 v[2:3], s[0:1], s1, v5, v[2:3]
	s_lshl_b64 s[0:1], s[2:3], 4
	s_mov_b32 s9, s7
	s_add_u32 s2, s10, s0
	s_addc_u32 s3, s11, s1
	s_lshl_b64 s[0:1], s[8:9], 4
	s_mul_i32 s4, s4, s33
	s_add_u32 s2, s2, s0
	v_mul_lo_u32 v36, s58, v4
	v_mul_lo_u16_e32 v3, 18, v5
	s_addc_u32 s3, s3, s1
	s_lshl_b64 s[0:1], s[4:5], 4
	ds_write_b128 v122, v[123:126] offset:176
	ds_write_b128 v122, v[114:117] offset:192
	;; [unrolled: 1-line block ×6, first 2 shown]
	v_lshlrev_b32_e32 v9, 4, v3
	v_lshlrev_b32_e32 v10, 4, v4
	s_add_u32 s0, s2, s0
	v_lshlrev_b64 v[1:2], 4, v[1:2]
	v_add3_u32 v3, 0, v9, v10
	s_addc_u32 s1, s3, s1
	s_waitcnt lgkmcnt(0)
	s_barrier
	ds_read_b128 v[3:6], v3
	v_mov_b32_e32 v7, s1
	v_add_co_u32_e32 v1, vcc, s0, v1
	v_addc_co_u32_e32 v2, vcc, v7, v2, vcc
	v_lshlrev_b64 v[7:8], 4, v[36:37]
	v_add_u32_e32 v36, s58, v36
	v_add_co_u32_e32 v7, vcc, v1, v7
	v_addc_co_u32_e32 v8, vcc, v2, v8, vcc
	s_waitcnt lgkmcnt(0)
	global_store_dwordx4 v[7:8], v[3:6], off
	s_nop 0
	v_add3_u32 v3, 0, v10, v9
	ds_read_b128 v[4:7], v3 offset:16
	v_lshlrev_b64 v[8:9], 4, v[36:37]
	v_add_u32_e32 v36, s58, v36
	v_add_co_u32_e32 v20, vcc, v1, v8
	v_addc_co_u32_e32 v21, vcc, v2, v9, vcc
	ds_read_b128 v[8:11], v3 offset:32
	ds_read_b128 v[12:15], v3 offset:48
	;; [unrolled: 1-line block ×3, first 2 shown]
	s_waitcnt lgkmcnt(3)
	global_store_dwordx4 v[20:21], v[4:7], off
	s_nop 0
	v_lshlrev_b64 v[4:5], 4, v[36:37]
	v_add_u32_e32 v36, s58, v36
	v_add_co_u32_e32 v4, vcc, v1, v4
	v_addc_co_u32_e32 v5, vcc, v2, v5, vcc
	s_waitcnt lgkmcnt(2)
	global_store_dwordx4 v[4:5], v[8:11], off
	v_lshlrev_b64 v[4:5], 4, v[36:37]
	v_add_u32_e32 v36, s58, v36
	v_add_co_u32_e32 v4, vcc, v1, v4
	v_addc_co_u32_e32 v5, vcc, v2, v5, vcc
	s_waitcnt lgkmcnt(1)
	global_store_dwordx4 v[4:5], v[12:15], off
	;; [unrolled: 6-line block ×3, first 2 shown]
	ds_read_b128 v[4:7], v3 offset:80
	v_lshlrev_b64 v[8:9], 4, v[36:37]
	v_add_u32_e32 v36, s58, v36
	v_add_co_u32_e32 v12, vcc, v1, v8
	v_addc_co_u32_e32 v13, vcc, v2, v9, vcc
	ds_read_b128 v[8:11], v3 offset:96
	s_waitcnt lgkmcnt(1)
	global_store_dwordx4 v[12:13], v[4:7], off
	s_nop 0
	v_lshlrev_b64 v[4:5], 4, v[36:37]
	v_add_u32_e32 v36, s58, v36
	v_add_co_u32_e32 v4, vcc, v1, v4
	v_addc_co_u32_e32 v5, vcc, v2, v5, vcc
	s_waitcnt lgkmcnt(0)
	global_store_dwordx4 v[4:5], v[8:11], off
	ds_read_b128 v[4:7], v3 offset:112
	v_lshlrev_b64 v[8:9], 4, v[36:37]
	v_add_u32_e32 v36, s58, v36
	v_add_co_u32_e32 v12, vcc, v1, v8
	v_addc_co_u32_e32 v13, vcc, v2, v9, vcc
	ds_read_b128 v[8:11], v3 offset:128
	s_waitcnt lgkmcnt(1)
	global_store_dwordx4 v[12:13], v[4:7], off
	s_nop 0
	v_lshlrev_b64 v[4:5], 4, v[36:37]
	v_add_u32_e32 v36, s58, v36
	v_add_co_u32_e32 v4, vcc, v1, v4
	v_addc_co_u32_e32 v5, vcc, v2, v5, vcc
	s_waitcnt lgkmcnt(0)
	global_store_dwordx4 v[4:5], v[8:11], off
	ds_read_b128 v[4:7], v3 offset:144
	v_lshlrev_b64 v[8:9], 4, v[36:37]
	v_add_u32_e32 v36, s58, v36
	v_add_co_u32_e32 v12, vcc, v1, v8
	v_addc_co_u32_e32 v13, vcc, v2, v9, vcc
	ds_read_b128 v[8:11], v3 offset:160
	s_waitcnt lgkmcnt(1)
	global_store_dwordx4 v[12:13], v[4:7], off
	s_nop 0
	v_lshlrev_b64 v[4:5], 4, v[36:37]
	v_add_u32_e32 v36, s58, v36
	v_add_co_u32_e32 v4, vcc, v1, v4
	v_addc_co_u32_e32 v5, vcc, v2, v5, vcc
	s_waitcnt lgkmcnt(0)
	global_store_dwordx4 v[4:5], v[8:11], off
	ds_read_b128 v[4:7], v3 offset:176
	v_lshlrev_b64 v[8:9], 4, v[36:37]
	v_add_u32_e32 v36, s58, v36
	v_add_co_u32_e32 v12, vcc, v1, v8
	v_addc_co_u32_e32 v13, vcc, v2, v9, vcc
	ds_read_b128 v[8:11], v3 offset:192
	s_waitcnt lgkmcnt(1)
	global_store_dwordx4 v[12:13], v[4:7], off
	s_nop 0
	v_lshlrev_b64 v[4:5], 4, v[36:37]
	v_add_u32_e32 v36, s58, v36
	v_add_co_u32_e32 v4, vcc, v1, v4
	v_addc_co_u32_e32 v5, vcc, v2, v5, vcc
	s_waitcnt lgkmcnt(0)
	global_store_dwordx4 v[4:5], v[8:11], off
	ds_read_b128 v[4:7], v3 offset:208
	v_lshlrev_b64 v[8:9], 4, v[36:37]
	v_add_u32_e32 v36, s58, v36
	v_add_co_u32_e32 v12, vcc, v1, v8
	v_addc_co_u32_e32 v13, vcc, v2, v9, vcc
	ds_read_b128 v[8:11], v3 offset:224
	s_waitcnt lgkmcnt(1)
	global_store_dwordx4 v[12:13], v[4:7], off
	s_nop 0
	v_lshlrev_b64 v[4:5], 4, v[36:37]
	v_add_u32_e32 v36, s58, v36
	v_add_co_u32_e32 v4, vcc, v1, v4
	v_addc_co_u32_e32 v5, vcc, v2, v5, vcc
	s_waitcnt lgkmcnt(0)
	global_store_dwordx4 v[4:5], v[8:11], off
	ds_read_b128 v[4:7], v3 offset:240
	v_lshlrev_b64 v[8:9], 4, v[36:37]
	v_add_u32_e32 v36, s58, v36
	v_add_co_u32_e32 v12, vcc, v1, v8
	v_addc_co_u32_e32 v13, vcc, v2, v9, vcc
	ds_read_b128 v[8:11], v3 offset:256
	s_waitcnt lgkmcnt(1)
	global_store_dwordx4 v[12:13], v[4:7], off
	s_nop 0
	v_lshlrev_b64 v[4:5], 4, v[36:37]
	v_add_co_u32_e32 v4, vcc, v1, v4
	v_addc_co_u32_e32 v5, vcc, v2, v5, vcc
	v_cmp_gt_u32_e32 vcc, s6, v0
	s_waitcnt lgkmcnt(0)
	global_store_dwordx4 v[4:5], v[8:11], off
	s_and_saveexec_b64 s[0:1], vcc
	s_cbranch_execz .LBB0_2
; %bb.1:
	v_add_u32_e32 v36, s58, v36
	ds_read_b128 v[3:6], v3 offset:272
	v_lshlrev_b64 v[7:8], 4, v[36:37]
	v_add_co_u32_e32 v0, vcc, v1, v7
	v_addc_co_u32_e32 v1, vcc, v2, v8, vcc
	s_waitcnt lgkmcnt(0)
	global_store_dwordx4 v[0:1], v[3:6], off
.LBB0_2:
	s_endpgm
	.section	.rodata,"a",@progbits
	.p2align	6, 0x0
	.amdhsa_kernel fft_rtc_fwd_len17_factors_17_wgs_120_tpt_1_dp_op_CI_CI_sbrc_erc_z_xy_aligned_dirReg
		.amdhsa_group_segment_fixed_size 0
		.amdhsa_private_segment_fixed_size 0
		.amdhsa_kernarg_size 104
		.amdhsa_user_sgpr_count 6
		.amdhsa_user_sgpr_private_segment_buffer 1
		.amdhsa_user_sgpr_dispatch_ptr 0
		.amdhsa_user_sgpr_queue_ptr 0
		.amdhsa_user_sgpr_kernarg_segment_ptr 1
		.amdhsa_user_sgpr_dispatch_id 0
		.amdhsa_user_sgpr_flat_scratch_init 0
		.amdhsa_user_sgpr_private_segment_size 0
		.amdhsa_uses_dynamic_stack 0
		.amdhsa_system_sgpr_private_segment_wavefront_offset 0
		.amdhsa_system_sgpr_workgroup_id_x 1
		.amdhsa_system_sgpr_workgroup_id_y 0
		.amdhsa_system_sgpr_workgroup_id_z 0
		.amdhsa_system_sgpr_workgroup_info 0
		.amdhsa_system_vgpr_workitem_id 0
		.amdhsa_next_free_vgpr 163
		.amdhsa_next_free_sgpr 59
		.amdhsa_reserve_vcc 1
		.amdhsa_reserve_flat_scratch 0
		.amdhsa_float_round_mode_32 0
		.amdhsa_float_round_mode_16_64 0
		.amdhsa_float_denorm_mode_32 3
		.amdhsa_float_denorm_mode_16_64 3
		.amdhsa_dx10_clamp 1
		.amdhsa_ieee_mode 1
		.amdhsa_fp16_overflow 0
		.amdhsa_exception_fp_ieee_invalid_op 0
		.amdhsa_exception_fp_denorm_src 0
		.amdhsa_exception_fp_ieee_div_zero 0
		.amdhsa_exception_fp_ieee_overflow 0
		.amdhsa_exception_fp_ieee_underflow 0
		.amdhsa_exception_fp_ieee_inexact 0
		.amdhsa_exception_int_div_zero 0
	.end_amdhsa_kernel
	.text
.Lfunc_end0:
	.size	fft_rtc_fwd_len17_factors_17_wgs_120_tpt_1_dp_op_CI_CI_sbrc_erc_z_xy_aligned_dirReg, .Lfunc_end0-fft_rtc_fwd_len17_factors_17_wgs_120_tpt_1_dp_op_CI_CI_sbrc_erc_z_xy_aligned_dirReg
                                        ; -- End function
	.section	.AMDGPU.csdata,"",@progbits
; Kernel info:
; codeLenInByte = 9924
; NumSgprs: 63
; NumVgprs: 163
; ScratchSize: 0
; MemoryBound: 0
; FloatMode: 240
; IeeeMode: 1
; LDSByteSize: 0 bytes/workgroup (compile time only)
; SGPRBlocks: 7
; VGPRBlocks: 40
; NumSGPRsForWavesPerEU: 63
; NumVGPRsForWavesPerEU: 163
; Occupancy: 1
; WaveLimiterHint : 1
; COMPUTE_PGM_RSRC2:SCRATCH_EN: 0
; COMPUTE_PGM_RSRC2:USER_SGPR: 6
; COMPUTE_PGM_RSRC2:TRAP_HANDLER: 0
; COMPUTE_PGM_RSRC2:TGID_X_EN: 1
; COMPUTE_PGM_RSRC2:TGID_Y_EN: 0
; COMPUTE_PGM_RSRC2:TGID_Z_EN: 0
; COMPUTE_PGM_RSRC2:TIDIG_COMP_CNT: 0
	.type	__hip_cuid_ec053434b1db3370,@object ; @__hip_cuid_ec053434b1db3370
	.section	.bss,"aw",@nobits
	.globl	__hip_cuid_ec053434b1db3370
__hip_cuid_ec053434b1db3370:
	.byte	0                               ; 0x0
	.size	__hip_cuid_ec053434b1db3370, 1

	.ident	"AMD clang version 19.0.0git (https://github.com/RadeonOpenCompute/llvm-project roc-6.4.0 25133 c7fe45cf4b819c5991fe208aaa96edf142730f1d)"
	.section	".note.GNU-stack","",@progbits
	.addrsig
	.addrsig_sym __hip_cuid_ec053434b1db3370
	.amdgpu_metadata
---
amdhsa.kernels:
  - .args:
      - .actual_access:  read_only
        .address_space:  global
        .offset:         0
        .size:           8
        .value_kind:     global_buffer
      - .offset:         8
        .size:           8
        .value_kind:     by_value
      - .actual_access:  read_only
        .address_space:  global
        .offset:         16
        .size:           8
        .value_kind:     global_buffer
      - .actual_access:  read_only
        .address_space:  global
        .offset:         24
        .size:           8
        .value_kind:     global_buffer
      - .actual_access:  read_only
        .address_space:  global
        .offset:         32
        .size:           8
        .value_kind:     global_buffer
      - .offset:         40
        .size:           8
        .value_kind:     by_value
      - .actual_access:  read_only
        .address_space:  global
        .offset:         48
        .size:           8
        .value_kind:     global_buffer
      - .actual_access:  read_only
        .address_space:  global
        .offset:         56
        .size:           8
        .value_kind:     global_buffer
      - .offset:         64
        .size:           4
        .value_kind:     by_value
      - .actual_access:  read_only
        .address_space:  global
        .offset:         72
        .size:           8
        .value_kind:     global_buffer
      - .actual_access:  read_only
        .address_space:  global
        .offset:         80
        .size:           8
        .value_kind:     global_buffer
      - .actual_access:  read_only
        .address_space:  global
        .offset:         88
        .size:           8
        .value_kind:     global_buffer
      - .actual_access:  write_only
        .address_space:  global
        .offset:         96
        .size:           8
        .value_kind:     global_buffer
    .group_segment_fixed_size: 0
    .kernarg_segment_align: 8
    .kernarg_segment_size: 104
    .language:       OpenCL C
    .language_version:
      - 2
      - 0
    .max_flat_workgroup_size: 120
    .name:           fft_rtc_fwd_len17_factors_17_wgs_120_tpt_1_dp_op_CI_CI_sbrc_erc_z_xy_aligned_dirReg
    .private_segment_fixed_size: 0
    .sgpr_count:     63
    .sgpr_spill_count: 0
    .symbol:         fft_rtc_fwd_len17_factors_17_wgs_120_tpt_1_dp_op_CI_CI_sbrc_erc_z_xy_aligned_dirReg.kd
    .uniform_work_group_size: 1
    .uses_dynamic_stack: false
    .vgpr_count:     163
    .vgpr_spill_count: 0
    .wavefront_size: 64
amdhsa.target:   amdgcn-amd-amdhsa--gfx906
amdhsa.version:
  - 1
  - 2
...

	.end_amdgpu_metadata
